;; amdgpu-corpus repo=ROCm/rocFFT kind=compiled arch=gfx906 opt=O3
	.text
	.amdgcn_target "amdgcn-amd-amdhsa--gfx906"
	.amdhsa_code_object_version 6
	.protected	fft_rtc_back_len168_factors_7_6_4_wgs_252_tpt_42_halfLds_sp_op_CI_CI_sbcc_twdbase8_2step_dirReg_intrinsicRead ; -- Begin function fft_rtc_back_len168_factors_7_6_4_wgs_252_tpt_42_halfLds_sp_op_CI_CI_sbcc_twdbase8_2step_dirReg_intrinsicRead
	.globl	fft_rtc_back_len168_factors_7_6_4_wgs_252_tpt_42_halfLds_sp_op_CI_CI_sbcc_twdbase8_2step_dirReg_intrinsicRead
	.p2align	8
	.type	fft_rtc_back_len168_factors_7_6_4_wgs_252_tpt_42_halfLds_sp_op_CI_CI_sbcc_twdbase8_2step_dirReg_intrinsicRead,@function
fft_rtc_back_len168_factors_7_6_4_wgs_252_tpt_42_halfLds_sp_op_CI_CI_sbcc_twdbase8_2step_dirReg_intrinsicRead: ; @fft_rtc_back_len168_factors_7_6_4_wgs_252_tpt_42_halfLds_sp_op_CI_CI_sbcc_twdbase8_2step_dirReg_intrinsicRead
; %bb.0:
	s_load_dwordx4 s[0:3], s[4:5], 0x18
	s_load_dwordx2 s[26:27], s[4:5], 0x28
	s_mov_b32 s7, 0
	s_mov_b64 s[30:31], 0
	s_waitcnt lgkmcnt(0)
	s_load_dwordx2 s[24:25], s[0:1], 0x8
	s_waitcnt lgkmcnt(0)
	s_add_u32 s8, s24, -1
	s_addc_u32 s9, s25, -1
	s_add_u32 s10, 0, 0xaaa80000
	s_addc_u32 s11, 0, 0xaa
	s_mul_hi_u32 s13, s10, -6
	s_add_i32 s11, s11, 0x2aaaaa00
	s_sub_i32 s13, s13, s10
	s_mul_i32 s16, s11, -6
	s_mul_i32 s12, s10, -6
	s_add_i32 s13, s13, s16
	s_mul_hi_u32 s14, s11, s12
	s_mul_i32 s15, s11, s12
	s_mul_i32 s17, s10, s13
	s_mul_hi_u32 s12, s10, s12
	s_mul_hi_u32 s16, s10, s13
	s_add_u32 s12, s12, s17
	s_addc_u32 s16, 0, s16
	s_add_u32 s12, s12, s15
	s_mul_hi_u32 s17, s11, s13
	s_addc_u32 s12, s16, s14
	s_addc_u32 s14, s17, 0
	s_mul_i32 s13, s11, s13
	s_add_u32 s12, s12, s13
	v_mov_b32_e32 v1, s12
	s_addc_u32 s13, 0, s14
	v_add_co_u32_e32 v1, vcc, s10, v1
	s_cmp_lg_u64 vcc, 0
	s_addc_u32 s10, s11, s13
	v_readfirstlane_b32 s13, v1
	s_mul_i32 s12, s8, s10
	s_mul_hi_u32 s14, s8, s13
	s_mul_hi_u32 s11, s8, s10
	s_add_u32 s12, s14, s12
	s_addc_u32 s11, 0, s11
	s_mul_hi_u32 s15, s9, s13
	s_mul_i32 s13, s9, s13
	s_add_u32 s12, s12, s13
	s_mul_hi_u32 s14, s9, s10
	s_addc_u32 s11, s11, s15
	s_addc_u32 s12, s14, 0
	s_mul_i32 s10, s9, s10
	s_add_u32 s10, s11, s10
	s_addc_u32 s11, 0, s12
	s_add_u32 s12, s10, 1
	s_addc_u32 s13, s11, 0
	s_add_u32 s14, s10, 2
	s_mul_i32 s16, s11, 6
	s_mul_hi_u32 s17, s10, 6
	s_addc_u32 s15, s11, 0
	s_add_i32 s17, s17, s16
	s_mul_i32 s16, s10, 6
	v_mov_b32_e32 v1, s16
	v_sub_co_u32_e32 v1, vcc, s8, v1
	s_cmp_lg_u64 vcc, 0
	s_subb_u32 s8, s9, s17
	v_subrev_co_u32_e32 v2, vcc, 6, v1
	s_cmp_lg_u64 vcc, 0
	s_subb_u32 s9, s8, 0
	v_readfirstlane_b32 s16, v2
	s_cmp_gt_u32 s16, 5
	s_cselect_b32 s16, -1, 0
	s_cmp_eq_u32 s9, 0
	s_cselect_b32 s9, s16, -1
	s_cmp_lg_u32 s9, 0
	s_cselect_b32 s9, s14, s12
	s_cselect_b32 s12, s15, s13
	v_readfirstlane_b32 s13, v1
	s_cmp_gt_u32 s13, 5
	s_cselect_b32 s13, -1, 0
	s_cmp_eq_u32 s8, 0
	s_cselect_b32 s8, s13, -1
	s_cmp_lg_u32 s8, 0
	s_cselect_b32 s9, s9, s10
	s_cselect_b32 s8, s12, s11
	s_add_u32 s36, s9, 1
	s_addc_u32 s37, s8, 0
	v_mov_b32_e32 v1, s36
	v_mov_b32_e32 v2, s37
	v_cmp_lt_u64_e32 vcc, s[6:7], v[1:2]
	s_cbranch_vccnz .LBB0_2
; %bb.1:
	v_cvt_f32_u32_e32 v1, s36
	s_sub_i32 s8, 0, s36
	s_mov_b32 s31, s7
	v_rcp_iflag_f32_e32 v1, v1
	v_mul_f32_e32 v1, 0x4f7ffffe, v1
	v_cvt_u32_f32_e32 v1, v1
	v_readfirstlane_b32 s9, v1
	s_mul_i32 s8, s8, s9
	s_mul_hi_u32 s8, s9, s8
	s_add_i32 s9, s9, s8
	s_mul_hi_u32 s8, s6, s9
	s_mul_i32 s10, s8, s36
	s_sub_i32 s10, s6, s10
	s_add_i32 s9, s8, 1
	s_sub_i32 s11, s10, s36
	s_cmp_ge_u32 s10, s36
	s_cselect_b32 s8, s9, s8
	s_cselect_b32 s10, s11, s10
	s_add_i32 s9, s8, 1
	s_cmp_ge_u32 s10, s36
	s_cselect_b32 s30, s9, s8
.LBB0_2:
	s_load_dwordx4 s[12:15], s[4:5], 0x60
	s_load_dwordx4 s[20:23], s[2:3], 0x0
	;; [unrolled: 1-line block ×3, first 2 shown]
	s_load_dwordx2 s[34:35], s[4:5], 0x0
	s_load_dwordx4 s[16:19], s[4:5], 0x8
	s_mul_i32 s4, s30, s37
	s_mul_hi_u32 s5, s30, s36
	s_add_i32 s5, s5, s4
	s_mul_i32 s4, s30, s36
	s_sub_u32 s33, s6, s4
	s_subb_u32 s4, 0, s5
	s_mul_i32 s4, s4, 6
	s_waitcnt lgkmcnt(0)
	s_mul_hi_u32 s21, s33, 6
	s_add_i32 s21, s21, s4
	s_mul_i32 s33, s33, 6
	s_mul_i32 s4, s22, s21
	s_mul_hi_u32 s5, s22, s33
	s_add_i32 s4, s5, s4
	s_mul_i32 s5, s23, s33
	s_add_i32 s50, s4, s5
	s_mul_i32 s4, s10, s21
	s_mul_hi_u32 s5, s10, s33
	s_add_i32 s4, s5, s4
	s_mul_i32 s5, s11, s33
	s_add_i32 s29, s4, s5
	v_cmp_lt_u64_e64 s[4:5], s[18:19], 3
	s_mul_i32 s23, s22, s33
	s_mul_i32 s28, s10, s33
	s_and_b64 vcc, exec, s[4:5]
	s_cbranch_vccnz .LBB0_12
; %bb.3:
	s_add_u32 s4, s26, 16
	s_addc_u32 s5, s27, 0
	s_add_u32 s38, s2, 16
	s_addc_u32 s39, s3, 0
	s_add_u32 s40, s0, 16
	v_mov_b32_e32 v1, s18
	s_addc_u32 s41, s1, 0
	s_mov_b64 s[42:43], 2
	s_mov_b32 s44, 0
	v_mov_b32_e32 v2, s19
.LBB0_4:                                ; =>This Inner Loop Header: Depth=1
	s_load_dwordx2 s[46:47], s[40:41], 0x0
	s_waitcnt lgkmcnt(0)
	s_or_b64 s[0:1], s[30:31], s[46:47]
	s_mov_b32 s45, s1
	s_cmp_lg_u64 s[44:45], 0
	s_cbranch_scc0 .LBB0_9
; %bb.5:                                ;   in Loop: Header=BB0_4 Depth=1
	v_cvt_f32_u32_e32 v3, s46
	v_cvt_f32_u32_e32 v4, s47
	s_sub_u32 s0, 0, s46
	s_subb_u32 s1, 0, s47
	v_mac_f32_e32 v3, 0x4f800000, v4
	v_rcp_f32_e32 v3, v3
	v_mul_f32_e32 v3, 0x5f7ffffc, v3
	v_mul_f32_e32 v4, 0x2f800000, v3
	v_trunc_f32_e32 v4, v4
	v_mac_f32_e32 v3, 0xcf800000, v4
	v_cvt_u32_f32_e32 v4, v4
	v_cvt_u32_f32_e32 v3, v3
	v_readfirstlane_b32 s45, v4
	v_readfirstlane_b32 s48, v3
	s_mul_i32 s49, s0, s45
	s_mul_hi_u32 s52, s0, s48
	s_mul_i32 s51, s1, s48
	s_add_i32 s49, s52, s49
	s_mul_i32 s53, s0, s48
	s_add_i32 s49, s49, s51
	s_mul_hi_u32 s51, s48, s49
	s_mul_i32 s52, s48, s49
	s_mul_hi_u32 s48, s48, s53
	s_add_u32 s48, s48, s52
	s_addc_u32 s51, 0, s51
	s_mul_hi_u32 s54, s45, s53
	s_mul_i32 s53, s45, s53
	s_add_u32 s48, s48, s53
	s_mul_hi_u32 s52, s45, s49
	s_addc_u32 s48, s51, s54
	s_addc_u32 s51, s52, 0
	s_mul_i32 s49, s45, s49
	s_add_u32 s48, s48, s49
	s_addc_u32 s49, 0, s51
	v_add_co_u32_e32 v3, vcc, s48, v3
	s_cmp_lg_u64 vcc, 0
	s_addc_u32 s45, s45, s49
	v_readfirstlane_b32 s49, v3
	s_mul_i32 s48, s0, s45
	s_mul_hi_u32 s51, s0, s49
	s_add_i32 s48, s51, s48
	s_mul_i32 s1, s1, s49
	s_add_i32 s48, s48, s1
	s_mul_i32 s0, s0, s49
	s_mul_hi_u32 s51, s45, s0
	s_mul_i32 s52, s45, s0
	s_mul_i32 s54, s49, s48
	s_mul_hi_u32 s0, s49, s0
	s_mul_hi_u32 s53, s49, s48
	s_add_u32 s0, s0, s54
	s_addc_u32 s49, 0, s53
	s_add_u32 s0, s0, s52
	s_mul_hi_u32 s1, s45, s48
	s_addc_u32 s0, s49, s51
	s_addc_u32 s1, s1, 0
	s_mul_i32 s48, s45, s48
	s_add_u32 s0, s0, s48
	s_addc_u32 s1, 0, s1
	v_add_co_u32_e32 v3, vcc, s0, v3
	s_cmp_lg_u64 vcc, 0
	s_addc_u32 s0, s45, s1
	v_readfirstlane_b32 s48, v3
	s_mul_i32 s45, s30, s0
	s_mul_hi_u32 s49, s30, s48
	s_mul_hi_u32 s1, s30, s0
	s_add_u32 s45, s49, s45
	s_addc_u32 s1, 0, s1
	s_mul_hi_u32 s51, s31, s48
	s_mul_i32 s48, s31, s48
	s_add_u32 s45, s45, s48
	s_mul_hi_u32 s49, s31, s0
	s_addc_u32 s1, s1, s51
	s_addc_u32 s45, s49, 0
	s_mul_i32 s0, s31, s0
	s_add_u32 s48, s1, s0
	s_addc_u32 s45, 0, s45
	s_mul_i32 s0, s46, s45
	s_mul_hi_u32 s1, s46, s48
	s_add_i32 s0, s1, s0
	s_mul_i32 s1, s47, s48
	s_add_i32 s49, s0, s1
	s_mul_i32 s1, s46, s48
	v_mov_b32_e32 v3, s1
	s_sub_i32 s0, s31, s49
	v_sub_co_u32_e32 v3, vcc, s30, v3
	s_cmp_lg_u64 vcc, 0
	s_subb_u32 s51, s0, s47
	v_subrev_co_u32_e64 v4, s[0:1], s46, v3
	s_cmp_lg_u64 s[0:1], 0
	s_subb_u32 s0, s51, 0
	s_cmp_ge_u32 s0, s47
	v_readfirstlane_b32 s51, v4
	s_cselect_b32 s1, -1, 0
	s_cmp_ge_u32 s51, s46
	s_cselect_b32 s51, -1, 0
	s_cmp_eq_u32 s0, s47
	s_cselect_b32 s0, s51, s1
	s_add_u32 s1, s48, 1
	s_addc_u32 s51, s45, 0
	s_add_u32 s52, s48, 2
	s_addc_u32 s53, s45, 0
	s_cmp_lg_u32 s0, 0
	s_cselect_b32 s0, s52, s1
	s_cselect_b32 s1, s53, s51
	s_cmp_lg_u64 vcc, 0
	s_subb_u32 s49, s31, s49
	s_cmp_ge_u32 s49, s47
	v_readfirstlane_b32 s52, v3
	s_cselect_b32 s51, -1, 0
	s_cmp_ge_u32 s52, s46
	s_cselect_b32 s52, -1, 0
	s_cmp_eq_u32 s49, s47
	s_cselect_b32 s49, s52, s51
	s_cmp_lg_u32 s49, 0
	s_cselect_b32 s1, s1, s45
	s_cselect_b32 s0, s0, s48
	s_cbranch_execnz .LBB0_7
.LBB0_6:                                ;   in Loop: Header=BB0_4 Depth=1
	v_cvt_f32_u32_e32 v3, s46
	s_sub_i32 s0, 0, s46
	v_rcp_iflag_f32_e32 v3, v3
	v_mul_f32_e32 v3, 0x4f7ffffe, v3
	v_cvt_u32_f32_e32 v3, v3
	v_readfirstlane_b32 s1, v3
	s_mul_i32 s0, s0, s1
	s_mul_hi_u32 s0, s1, s0
	s_add_i32 s1, s1, s0
	s_mul_hi_u32 s0, s30, s1
	s_mul_i32 s45, s0, s46
	s_sub_i32 s45, s30, s45
	s_add_i32 s1, s0, 1
	s_sub_i32 s48, s45, s46
	s_cmp_ge_u32 s45, s46
	s_cselect_b32 s0, s1, s0
	s_cselect_b32 s45, s48, s45
	s_add_i32 s1, s0, 1
	s_cmp_ge_u32 s45, s46
	s_cselect_b32 s0, s1, s0
	s_mov_b32 s1, s44
.LBB0_7:                                ;   in Loop: Header=BB0_4 Depth=1
	s_mul_i32 s37, s46, s37
	s_mul_hi_u32 s45, s46, s36
	s_add_i32 s37, s45, s37
	s_mul_i32 s45, s47, s36
	s_add_i32 s37, s37, s45
	s_mul_i32 s45, s0, s47
	s_mul_hi_u32 s47, s0, s46
	s_load_dwordx2 s[48:49], s[38:39], 0x0
	s_add_i32 s45, s47, s45
	s_mul_i32 s47, s1, s46
	s_mul_i32 s36, s46, s36
	s_add_i32 s45, s45, s47
	s_mul_i32 s46, s0, s46
	s_sub_u32 s46, s30, s46
	s_subb_u32 s45, s31, s45
	s_waitcnt lgkmcnt(0)
	s_mul_i32 s30, s48, s45
	s_mul_hi_u32 s31, s48, s46
	s_add_i32 s47, s31, s30
	s_load_dwordx2 s[30:31], s[4:5], 0x0
	s_mul_i32 s49, s49, s46
	s_add_i32 s47, s47, s49
	s_mul_i32 s48, s48, s46
	s_add_u32 s23, s48, s23
	s_addc_u32 s50, s47, s50
	s_waitcnt lgkmcnt(0)
	s_mul_i32 s45, s30, s45
	s_mul_hi_u32 s47, s30, s46
	s_add_i32 s45, s47, s45
	s_mul_i32 s31, s31, s46
	s_add_i32 s45, s45, s31
	s_mul_i32 s30, s30, s46
	s_add_u32 s28, s30, s28
	s_addc_u32 s29, s45, s29
	s_add_u32 s42, s42, 1
	s_addc_u32 s43, s43, 0
	;; [unrolled: 2-line block ×4, first 2 shown]
	v_cmp_ge_u64_e32 vcc, s[42:43], v[1:2]
	s_add_u32 s40, s40, 8
	s_addc_u32 s41, s41, 0
	s_cbranch_vccnz .LBB0_10
; %bb.8:                                ;   in Loop: Header=BB0_4 Depth=1
	s_mov_b64 s[30:31], s[0:1]
	s_branch .LBB0_4
.LBB0_9:                                ;   in Loop: Header=BB0_4 Depth=1
                                        ; implicit-def: $sgpr0_sgpr1
	s_branch .LBB0_6
.LBB0_10:
	v_mov_b32_e32 v1, s36
	v_mov_b32_e32 v2, s37
	v_cmp_lt_u64_e32 vcc, s[6:7], v[1:2]
	s_mov_b64 s[30:31], 0
	s_cbranch_vccnz .LBB0_12
; %bb.11:
	v_cvt_f32_u32_e32 v1, s36
	s_sub_i32 s0, 0, s36
	v_rcp_iflag_f32_e32 v1, v1
	v_mul_f32_e32 v1, 0x4f7ffffe, v1
	v_cvt_u32_f32_e32 v1, v1
	v_readfirstlane_b32 s1, v1
	s_mul_i32 s0, s0, s1
	s_mul_hi_u32 s0, s1, s0
	s_add_i32 s1, s1, s0
	s_mul_hi_u32 s0, s6, s1
	s_mul_i32 s4, s0, s36
	s_sub_i32 s4, s6, s4
	s_add_i32 s1, s0, 1
	s_sub_i32 s5, s4, s36
	s_cmp_ge_u32 s4, s36
	s_cselect_b32 s0, s1, s0
	s_cselect_b32 s4, s5, s4
	s_add_i32 s1, s0, 1
	s_cmp_ge_u32 s4, s36
	s_cselect_b32 s30, s1, s0
.LBB0_12:
	s_lshl_b64 s[0:1], s[18:19], 3
	s_add_u32 s2, s2, s0
	s_addc_u32 s3, s3, s1
	s_load_dword s2, s[2:3], 0x0
	v_mul_u32_u24_e32 v1, 0x2aab, v0
	v_lshrrev_b32_e32 v23, 16, v1
	v_mul_lo_u16_e32 v1, 6, v23
	v_sub_u16_e32 v22, v0, v1
	s_waitcnt lgkmcnt(0)
	s_mul_i32 s2, s2, s30
	s_add_i32 s18, s2, s23
	s_add_u32 s6, s26, s0
	s_addc_u32 s7, s27, s1
	v_mov_b32_e32 v2, s21
	v_add_co_u32_e32 v1, vcc, s33, v22
	s_add_u32 s0, s33, 6
	v_mov_b32_e32 v3, s24
	v_addc_co_u32_e32 v2, vcc, 0, v2, vcc
	s_addc_u32 s1, s21, 0
	v_mov_b32_e32 v4, s25
	v_cmp_le_u64_e32 vcc, s[0:1], v[3:4]
	s_movk_i32 s0, 0x8f
	v_cmp_lt_u32_e64 s[4:5], s0, v0
	s_movk_i32 s0, 0x90
	v_cmp_gt_u32_e64 s[2:3], s0, v0
	v_cmp_gt_u64_e64 s[0:1], s[24:25], v[1:2]
	v_cndmask_b32_e64 v4, 0, 1, s[2:3]
	v_cndmask_b32_e64 v2, 0, 1, s[0:1]
	s_or_b64 s[4:5], s[4:5], vcc
	v_cndmask_b32_e64 v2, v2, v4, s[4:5]
	v_add_u32_e32 v4, 24, v23
	v_mul_lo_u32 v3, s22, v22
	v_mul_lo_u32 v4, s20, v4
	v_add_u32_e32 v5, 48, v23
	v_mul_lo_u32 v5, s20, v5
	v_and_b32_e32 v2, 1, v2
	v_add_lshl_u32 v4, v3, v4, 3
	v_cmp_eq_u32_e64 s[4:5], 1, v2
	v_cndmask_b32_e64 v2, -1, v4, s[4:5]
	v_add_lshl_u32 v4, v3, v5, 3
	v_add_u32_e32 v5, 0x48, v23
	v_mul_lo_u32 v5, s20, v5
	v_add_u32_e32 v6, 0x60, v23
	v_mul_lo_u32 v6, s20, v6
	v_cndmask_b32_e64 v7, -1, v4, s[4:5]
	v_add_lshl_u32 v4, v3, v5, 3
	v_add_u32_e32 v5, 0x78, v23
	v_cndmask_b32_e64 v8, -1, v4, s[4:5]
	v_add_lshl_u32 v4, v3, v6, 3
	v_mul_lo_u32 v5, s20, v5
	v_add_u32_e32 v6, 0x90, v23
	v_mul_lo_u32 v6, s20, v6
	v_cndmask_b32_e64 v9, -1, v4, s[4:5]
	v_add_lshl_u32 v4, v3, v5, 3
	s_lshl_b32 s18, s18, 3
	s_mov_b32 s27, 0x20000
	s_mov_b32 s26, -2
	s_mov_b32 s24, s12
	s_mov_b32 s25, s13
	v_cndmask_b32_e64 v20, -1, v4, s[4:5]
	v_add_lshl_u32 v4, v3, v6, 3
	v_cndmask_b32_e64 v6, -1, v4, s[4:5]
	buffer_load_dwordx2 v[4:5], v9, s[24:27], s18 offen
	buffer_load_dwordx2 v[10:11], v20, s[24:27], s18 offen
	;; [unrolled: 1-line block ×6, first 2 shown]
	v_mul_lo_u32 v2, s20, v23
	s_mov_b32 s12, 0xbf3bfb3b
	s_mov_b32 s13, 0x3eae86e6
	v_add_lshl_u32 v2, v3, v2, 3
	v_cndmask_b32_e64 v2, -1, v2, s[4:5]
	buffer_load_dwordx2 v[20:21], v2, s[24:27], s18 offen
	s_mov_b32 s4, 0xbf5ff5aa
	s_mov_b32 s5, 0x3f3bfb3b
	s_waitcnt vmcnt(3)
	v_add_f32_e32 v2, v18, v16
	s_waitcnt vmcnt(2)
	v_add_f32_e32 v3, v14, v10
	;; [unrolled: 2-line block ×3, first 2 shown]
	v_sub_f32_e32 v8, v15, v11
	v_sub_f32_e32 v9, v5, v13
	v_add_f32_e32 v24, v3, v2
	v_sub_f32_e32 v7, v19, v17
	v_sub_f32_e32 v25, v3, v2
	v_sub_f32_e32 v26, v2, v6
	v_sub_f32_e32 v3, v6, v3
	v_add_f32_e32 v2, v9, v8
	v_add_f32_e32 v6, v6, v24
	;; [unrolled: 1-line block ×3, first 2 shown]
	s_waitcnt vmcnt(0)
	v_add_f32_e32 v2, v20, v6
	v_sub_f32_e32 v24, v9, v8
	v_mov_b32_e32 v20, v2
	v_sub_f32_e32 v8, v8, v7
	v_fmac_f32_e32 v20, 0xbf955555, v6
	v_mul_f32_e32 v26, 0x3f4a47b2, v26
	v_mul_f32_e32 v24, 0x3f08b237, v24
	;; [unrolled: 1-line block ×3, first 2 shown]
	v_sub_f32_e32 v27, v7, v9
	v_fma_f32 v6, v25, s5, -v6
	v_fma_f32 v7, v25, s12, -v26
	v_mul_f32_e32 v9, 0xbf5ff5aa, v8
	v_fma_f32 v25, v8, s4, -v24
	v_fma_f32 v29, v27, s13, -v9
	v_fmac_f32_e32 v25, 0xbee1c552, v28
	v_add_f32_e32 v6, v6, v20
	v_fmac_f32_e32 v26, 0x3d64c772, v3
	v_fmac_f32_e32 v24, 0xbeae86e6, v27
	;; [unrolled: 1-line block ×3, first 2 shown]
	v_add_f32_e32 v7, v7, v20
	v_sub_f32_e32 v9, v6, v25
	v_add_f32_e32 v6, v25, v6
	v_add_f32_e32 v25, v26, v20
	v_fmac_f32_e32 v24, 0xbee1c552, v28
	v_add_f32_e32 v8, v29, v7
	v_sub_f32_e32 v7, v7, v29
	v_add_f32_e32 v3, v24, v25
	v_lshlrev_b32_e32 v20, 2, v22
	s_and_saveexec_b64 s[4:5], s[2:3]
	s_cbranch_execz .LBB0_14
; %bb.13:
	v_sub_f32_e32 v24, v25, v24
	v_mul_u32_u24_e32 v25, 0xa8, v23
	v_add3_u32 v25, 0, v25, v20
	ds_write2_b32 v25, v2, v3 offset1:6
	ds_write2_b32 v25, v8, v9 offset0:12 offset1:18
	ds_write2_b32 v25, v6, v7 offset0:24 offset1:30
	ds_write_b32 v25, v24 offset:144
.LBB0_14:
	s_or_b64 exec, exec, s[4:5]
	s_movk_i32 s4, 0xa8
	v_cmp_gt_u32_e64 s[4:5], s4, v0
	v_mul_u32_u24_e32 v24, 24, v23
	s_waitcnt lgkmcnt(0)
	s_barrier
	s_and_saveexec_b64 s[12:13], s[4:5]
	s_cbranch_execz .LBB0_16
; %bb.15:
	v_add3_u32 v6, 0, v24, v20
	ds_read2_b32 v[2:3], v6 offset1:168
	v_add_u32_e32 v7, 0x400, v6
	v_add_u32_e32 v6, 0xa00, v6
	ds_read2_b32 v[8:9], v7 offset0:80 offset1:248
	ds_read2_b32 v[6:7], v6 offset0:32 offset1:200
.LBB0_16:
	s_or_b64 exec, exec, s[12:13]
	v_add_f32_e32 v17, v19, v17
	v_add_f32_e32 v11, v15, v11
	;; [unrolled: 1-line block ×3, first 2 shown]
	v_sub_f32_e32 v4, v4, v12
	v_add_f32_e32 v12, v11, v17
	v_sub_f32_e32 v16, v18, v16
	v_sub_f32_e32 v10, v14, v10
	;; [unrolled: 1-line block ×5, first 2 shown]
	v_add_f32_e32 v5, v5, v12
	v_add_f32_e32 v15, v4, v10
	v_sub_f32_e32 v17, v4, v10
	v_sub_f32_e32 v18, v16, v4
	v_add_f32_e32 v4, v21, v5
	v_sub_f32_e32 v10, v10, v16
	v_add_f32_e32 v12, v15, v16
	v_mul_f32_e32 v15, 0x3f4a47b2, v14
	v_mul_f32_e32 v16, 0x3d64c772, v11
	;; [unrolled: 1-line block ×3, first 2 shown]
	s_mov_b32 s12, 0xbf5ff5aa
	v_mov_b32_e32 v19, v4
	s_mov_b32 s13, 0x3f3bfb3b
	v_mul_f32_e32 v17, 0xbf5ff5aa, v10
	v_fmac_f32_e32 v19, 0xbf955555, v5
	v_fma_f32 v5, v13, s13, -v16
	s_mov_b32 s13, 0xbf3bfb3b
	v_fma_f32 v16, v10, s12, -v14
	s_mov_b32 s12, 0x3eae86e6
	v_fma_f32 v13, v13, s13, -v15
	v_fmac_f32_e32 v15, 0x3d64c772, v11
	v_fmac_f32_e32 v14, 0xbeae86e6, v18
	v_fma_f32 v17, v18, s12, -v17
	v_add_f32_e32 v15, v15, v19
	v_add_f32_e32 v18, v5, v19
	;; [unrolled: 1-line block ×3, first 2 shown]
	v_fmac_f32_e32 v14, 0xbee1c552, v12
	v_fmac_f32_e32 v16, 0xbee1c552, v12
	;; [unrolled: 1-line block ×3, first 2 shown]
	v_sub_f32_e32 v5, v15, v14
	v_sub_f32_e32 v10, v13, v17
	v_add_f32_e32 v11, v16, v18
	v_sub_f32_e32 v12, v18, v16
	v_add_f32_e32 v13, v17, v13
	s_waitcnt lgkmcnt(0)
	s_barrier
	s_and_saveexec_b64 s[12:13], s[2:3]
	s_cbranch_execz .LBB0_18
; %bb.17:
	v_add_f32_e32 v14, v14, v15
	v_mul_u32_u24_e32 v15, 0xa8, v23
	v_add3_u32 v15, 0, v15, v20
	ds_write2_b32 v15, v4, v5 offset1:6
	ds_write2_b32 v15, v10, v11 offset0:12 offset1:18
	ds_write2_b32 v15, v12, v13 offset0:24 offset1:30
	ds_write_b32 v15, v14 offset:144
.LBB0_18:
	s_or_b64 exec, exec, s[12:13]
	s_waitcnt lgkmcnt(0)
	s_barrier
	s_and_saveexec_b64 s[2:3], s[4:5]
	s_cbranch_execz .LBB0_20
; %bb.19:
	v_add3_u32 v12, 0, v24, v20
	ds_read2_b32 v[4:5], v12 offset1:168
	v_add_u32_e32 v10, 0x400, v12
	v_add_u32_e32 v12, 0xa00, v12
	ds_read2_b32 v[10:11], v10 offset0:80 offset1:248
	ds_read2_b32 v[12:13], v12 offset0:32 offset1:200
.LBB0_20:
	s_or_b64 exec, exec, s[2:3]
	v_mul_lo_u16_e32 v14, 37, v23
	v_lshrrev_b16_e32 v33, 8, v14
	v_mul_lo_u16_e32 v14, 7, v33
	v_sub_u16_e32 v14, v23, v14
	v_and_b32_e32 v34, 0xff, v14
	v_mul_u32_u24_e32 v14, 5, v34
	v_lshlrev_b32_e32 v17, 3, v14
	global_load_dwordx4 v[25:28], v17, s[34:35]
	global_load_dwordx4 v[29:32], v17, s[34:35] offset:16
	s_waitcnt vmcnt(1) lgkmcnt(1)
	v_mul_f32_e32 v15, v10, v28
	v_mul_f32_e32 v18, v8, v28
	v_fmac_f32_e32 v15, v8, v27
	v_fma_f32 v8, v10, v27, -v18
	global_load_dwordx2 v[17:18], v17, s[34:35] offset:32
	v_mul_f32_e32 v16, v5, v26
	v_mul_f32_e32 v14, v3, v26
	v_fmac_f32_e32 v16, v3, v25
	s_waitcnt vmcnt(1)
	v_mul_f32_e32 v3, v11, v30
	v_mul_f32_e32 v19, v9, v30
	v_fma_f32 v14, v5, v25, -v14
	v_fmac_f32_e32 v3, v9, v29
	v_mul_f32_e32 v21, v6, v32
	v_fma_f32 v9, v11, v29, -v19
	s_waitcnt lgkmcnt(0)
	v_mul_f32_e32 v10, v12, v32
	v_fma_f32 v19, v12, v31, -v21
	v_fmac_f32_e32 v10, v6, v31
	s_waitcnt vmcnt(0)
	s_barrier
	v_mul_f32_e32 v5, v13, v18
	v_mul_f32_e32 v11, v7, v18
	v_fmac_f32_e32 v5, v7, v17
	v_fma_f32 v12, v13, v17, -v11
	v_add_f32_e32 v6, v3, v5
	v_add_f32_e32 v13, v9, v12
	v_fma_f32 v11, -0.5, v6, v16
	v_fma_f32 v13, -0.5, v13, v14
	v_sub_f32_e32 v7, v9, v12
	v_sub_f32_e32 v17, v3, v5
	v_mov_b32_e32 v18, v11
	v_mov_b32_e32 v21, v13
	v_fmac_f32_e32 v11, 0x3f5db3d7, v7
	v_fmac_f32_e32 v13, 0xbf5db3d7, v17
	;; [unrolled: 1-line block ×4, first 2 shown]
	v_mad_u32_u24 v17, v33, 42, v34
	s_and_saveexec_b64 s[2:3], s[4:5]
	s_cbranch_execz .LBB0_22
; %bb.21:
	v_add_f32_e32 v6, v15, v10
	v_fma_f32 v6, -0.5, v6, v2
	v_sub_f32_e32 v7, v8, v19
	v_mov_b32_e32 v25, v6
	v_add_f32_e32 v2, v2, v15
	v_add_f32_e32 v3, v16, v3
	v_fmac_f32_e32 v25, 0x3f5db3d7, v7
	v_fmac_f32_e32 v6, 0xbf5db3d7, v7
	v_mul_f32_e32 v7, 0xbf5db3d7, v21
	v_add_f32_e32 v2, v2, v10
	v_add_f32_e32 v3, v3, v5
	v_mul_f32_e32 v26, 0xbf5db3d7, v13
	v_fmac_f32_e32 v7, 0.5, v18
	v_sub_f32_e32 v5, v2, v3
	v_add_f32_e32 v2, v2, v3
	v_mul_u32_u24_e32 v3, 24, v17
	v_fmac_f32_e32 v26, -0.5, v11
	v_sub_f32_e32 v28, v6, v7
	v_add_f32_e32 v6, v6, v7
	v_add3_u32 v3, 0, v3, v20
	v_sub_f32_e32 v27, v25, v26
	v_add_f32_e32 v16, v25, v26
	ds_write2_b32 v3, v2, v6 offset1:42
	ds_write2_b32 v3, v16, v5 offset0:84 offset1:126
	ds_write2_b32 v3, v28, v27 offset0:168 offset1:210
.LBB0_22:
	s_or_b64 exec, exec, s[2:3]
	v_add3_u32 v7, 0, v24, v20
	v_add_u32_e32 v5, 0x7e0, v7
	s_waitcnt lgkmcnt(0)
	s_barrier
	ds_read2_b32 v[2:3], v7 offset1:252
	ds_read2_b32 v[5:6], v5 offset1:252
	s_waitcnt lgkmcnt(0)
	s_barrier
	s_and_saveexec_b64 s[2:3], s[4:5]
	s_cbranch_execz .LBB0_24
; %bb.23:
	v_add_f32_e32 v16, v4, v8
	v_add_f32_e32 v8, v8, v19
	v_fmac_f32_e32 v4, -0.5, v8
	v_sub_f32_e32 v8, v15, v10
	v_mov_b32_e32 v10, v4
	v_fmac_f32_e32 v10, 0x3f5db3d7, v8
	v_fmac_f32_e32 v4, 0xbf5db3d7, v8
	v_add_f32_e32 v8, v14, v9
	v_add_f32_e32 v8, v8, v12
	v_mul_f32_e32 v12, 0.5, v21
	v_fmac_f32_e32 v12, 0x3f5db3d7, v18
	v_add_f32_e32 v16, v16, v19
	v_add_f32_e32 v14, v10, v12
	v_mul_f32_e32 v13, -0.5, v13
	v_sub_f32_e32 v10, v10, v12
	v_mul_u32_u24_e32 v12, 24, v17
	v_add_f32_e32 v9, v16, v8
	v_fmac_f32_e32 v13, 0x3f5db3d7, v11
	v_add3_u32 v12, 0, v12, v20
	v_add_f32_e32 v11, v4, v13
	v_sub_f32_e32 v8, v16, v8
	v_sub_f32_e32 v4, v4, v13
	ds_write2_b32 v12, v9, v14 offset1:42
	ds_write2_b32 v12, v11, v8 offset0:84 offset1:126
	ds_write2_b32 v12, v10, v4 offset0:168 offset1:210
.LBB0_24:
	s_or_b64 exec, exec, s[2:3]
	s_or_b64 s[0:1], vcc, s[0:1]
	s_waitcnt lgkmcnt(0)
	s_barrier
	s_and_saveexec_b64 s[2:3], s[0:1]
	s_cbranch_execz .LBB0_26
; %bb.25:
	v_mul_lo_u16_e32 v4, 49, v23
	v_lshrrev_b16_e32 v4, 11, v4
	v_mul_lo_u16_e32 v4, 42, v4
	v_sub_u16_e32 v4, v23, v4
	v_and_b32_e32 v23, 0xff, v4
	v_mul_u32_u24_e32 v4, 3, v23
	v_lshlrev_b32_e32 v4, 3, v4
	global_load_dwordx4 v[8:11], v4, s[34:35] offset:280
	v_add_u32_e32 v12, 0x7e, v23
	v_mul_lo_u32 v14, v1, v12
	global_load_dwordx2 v[12:13], v4, s[34:35] offset:296
	v_mov_b32_e32 v24, 3
	v_lshlrev_b32_sdwa v4, v24, v14 dst_sel:DWORD dst_unused:UNUSED_PAD src0_sel:DWORD src1_sel:BYTE_0
	v_lshlrev_b32_sdwa v18, v24, v14 dst_sel:DWORD dst_unused:UNUSED_PAD src0_sel:DWORD src1_sel:BYTE_1
	global_load_dwordx2 v[14:15], v4, s[16:17]
	global_load_dwordx2 v[16:17], v18, s[16:17] offset:2048
	ds_read2_b32 v[18:19], v7 offset1:252
	v_add_u32_e32 v4, 0x7e0, v7
	ds_read2_b32 v[20:21], v4 offset1:252
	s_waitcnt vmcnt(3) lgkmcnt(1)
	v_mul_f32_e32 v25, v19, v9
	v_mul_f32_e32 v4, v5, v11
	;; [unrolled: 1-line block ×3, first 2 shown]
	v_fmac_f32_e32 v25, v3, v8
	v_add_u32_e32 v3, 0x54, v23
	s_waitcnt lgkmcnt(0)
	v_mul_f32_e32 v26, v20, v11
	v_fma_f32 v20, v20, v10, -v4
	v_mul_lo_u32 v3, v1, v3
	v_add_u32_e32 v4, 42, v23
	v_mul_lo_u32 v4, v1, v4
	v_fma_f32 v19, v19, v8, -v7
	v_mul_lo_u32 v1, v1, v23
	v_lshlrev_b32_sdwa v7, v24, v3 dst_sel:DWORD dst_unused:UNUSED_PAD src0_sel:DWORD src1_sel:BYTE_0
	v_lshlrev_b32_sdwa v8, v24, v3 dst_sel:DWORD dst_unused:UNUSED_PAD src0_sel:DWORD src1_sel:BYTE_1
	s_waitcnt vmcnt(2)
	v_mul_f32_e32 v28, v21, v13
	v_mul_f32_e32 v3, v6, v13
	v_fmac_f32_e32 v26, v5, v10
	v_lshlrev_b32_sdwa v11, v24, v4 dst_sel:DWORD dst_unused:UNUSED_PAD src0_sel:DWORD src1_sel:BYTE_0
	v_lshlrev_b32_sdwa v27, v24, v4 dst_sel:DWORD dst_unused:UNUSED_PAD src0_sel:DWORD src1_sel:BYTE_1
	v_fmac_f32_e32 v28, v6, v12
	v_fma_f32 v21, v21, v12, -v3
	global_load_dwordx2 v[3:4], v7, s[16:17]
	global_load_dwordx2 v[5:6], v8, s[16:17] offset:2048
	s_waitcnt vmcnt(2)
	v_mul_f32_e32 v7, v15, v17
	v_fma_f32 v29, v14, v16, -v7
	global_load_dwordx2 v[7:8], v11, s[16:17]
	global_load_dwordx2 v[9:10], v27, s[16:17] offset:2048
	v_mul_f32_e32 v17, v14, v17
	v_fmac_f32_e32 v17, v15, v16
	v_lshlrev_b32_sdwa v15, v24, v1 dst_sel:DWORD dst_unused:UNUSED_PAD src0_sel:DWORD src1_sel:BYTE_0
	v_lshlrev_b32_sdwa v1, v24, v1 dst_sel:DWORD dst_unused:UNUSED_PAD src0_sel:DWORD src1_sel:BYTE_1
	global_load_dwordx2 v[11:12], v15, s[16:17]
	global_load_dwordx2 v[13:14], v1, s[16:17] offset:2048
	s_load_dwordx2 s[0:1], s[6:7], 0x0
	v_sub_f32_e32 v1, v18, v20
	v_sub_f32_e32 v15, v25, v28
	;; [unrolled: 1-line block ×5, first 2 shown]
	v_add_f32_e32 v24, v16, v20
	v_fma_f32 v19, v19, 2.0, -v20
	s_waitcnt lgkmcnt(0)
	s_mul_i32 s1, s1, s30
	s_mul_hi_u32 s2, s0, s30
	v_fma_f32 v18, v18, 2.0, -v1
	v_fma_f32 v15, v25, 2.0, -v15
	;; [unrolled: 1-line block ×3, first 2 shown]
	s_add_i32 s1, s2, s1
	v_fma_f32 v2, v2, 2.0, -v16
	v_sub_f32_e32 v19, v18, v19
	v_sub_f32_e32 v15, v2, v15
	v_fma_f32 v16, v16, 2.0, -v24
	s_mul_i32 s0, s0, s30
	v_fma_f32 v27, v2, 2.0, -v15
	s_lshl_b64 s[0:1], s[0:1], 3
	v_fma_f32 v18, v18, 2.0, -v19
	v_mul_f32_e32 v2, v24, v17
	v_fma_f32 v2, v21, v29, -v2
	s_waitcnt vmcnt(4)
	v_mul_f32_e32 v20, v4, v6
	v_mul_f32_e32 v6, v3, v6
	v_fmac_f32_e32 v6, v4, v5
	s_waitcnt vmcnt(2)
	v_mul_f32_e32 v1, v8, v10
	v_mul_f32_e32 v4, v7, v10
	v_fma_f32 v7, v7, v9, -v1
	v_fmac_f32_e32 v4, v8, v9
	v_mad_u64_u32 v[9:10], s[2:3], s10, v22, 0
	s_movk_i32 s2, 0x105
	v_fma_f32 v20, v3, v5, -v20
	s_waitcnt vmcnt(0)
	v_mul_f32_e32 v3, v12, v14
	v_mul_u32_u24_sdwa v0, v0, s2 dst_sel:DWORD dst_unused:UNUSED_PAD src0_sel:WORD_0 src1_sel:DWORD
	s_movk_i32 s2, 0xa8
	v_fma_f32 v26, v11, v13, -v3
	v_mul_f32_e32 v8, v15, v6
	v_mul_f32_e32 v3, v19, v6
	v_mul_f32_e32 v6, v16, v4
	v_mul_f32_e32 v5, v25, v4
	v_mul_lo_u16_sdwa v0, v0, s2 dst_sel:DWORD dst_unused:UNUSED_PAD src0_sel:WORD_1 src1_sel:DWORD
	v_fma_f32 v6, v25, v7, -v6
	v_fmac_f32_e32 v5, v16, v7
	v_mul_f32_e32 v7, v11, v14
	v_add_u32_e32 v16, v23, v0
	v_fmac_f32_e32 v7, v12, v13
	v_mad_u64_u32 v[11:12], s[2:3], s8, v16, 0
	v_mul_f32_e32 v1, v21, v17
	v_fmac_f32_e32 v1, v24, v29
	v_mov_b32_e32 v0, v10
	v_mad_u64_u32 v[13:14], s[2:3], s11, v22, v[0:1]
	v_mov_b32_e32 v0, v12
	v_fmac_f32_e32 v3, v15, v20
	v_mad_u64_u32 v[14:15], s[2:3], s9, v16, v[0:1]
	s_add_u32 s2, s14, s0
	s_addc_u32 s3, s15, s1
	s_lshl_b64 s[0:1], s[28:29], 3
	s_add_u32 s2, s2, s0
	s_addc_u32 s0, s3, s1
	v_add_u32_e32 v15, 42, v16
	v_mov_b32_e32 v10, v13
	v_mov_b32_e32 v12, v14
	;; [unrolled: 1-line block ×3, first 2 shown]
	v_mad_u64_u32 v[13:14], s[0:1], s8, v15, 0
	v_lshlrev_b64 v[9:10], 3, v[9:10]
	v_fma_f32 v4, v19, v20, -v8
	v_mul_f32_e32 v8, v27, v7
	v_add_co_u32_e32 v17, vcc, s2, v9
	v_fma_f32 v8, v18, v26, -v8
	v_mul_f32_e32 v7, v18, v7
	v_addc_co_u32_e32 v18, vcc, v0, v10, vcc
	v_mov_b32_e32 v0, v14
	v_lshlrev_b64 v[9:10], 3, v[11:12]
	v_mad_u64_u32 v[11:12], s[0:1], s9, v15, v[0:1]
	v_add_co_u32_e32 v9, vcc, v17, v9
	v_fmac_f32_e32 v7, v27, v26
	v_addc_co_u32_e32 v10, vcc, v18, v10, vcc
	v_mov_b32_e32 v14, v11
	v_add_u32_e32 v11, 0x54, v16
	global_store_dwordx2 v[9:10], v[7:8], off
	v_mad_u64_u32 v[9:10], s[0:1], s8, v11, 0
	v_lshlrev_b64 v[7:8], 3, v[13:14]
	v_add_u32_e32 v13, 0x7e, v16
	v_mov_b32_e32 v0, v10
	v_mad_u64_u32 v[10:11], s[0:1], s9, v11, v[0:1]
	v_mad_u64_u32 v[11:12], s[0:1], s8, v13, 0
	v_add_co_u32_e32 v7, vcc, v17, v7
	v_addc_co_u32_e32 v8, vcc, v18, v8, vcc
	v_mov_b32_e32 v0, v12
	global_store_dwordx2 v[7:8], v[5:6], off
	v_mad_u64_u32 v[7:8], s[0:1], s9, v13, v[0:1]
	v_lshlrev_b64 v[5:6], 3, v[9:10]
	v_add_co_u32_e32 v5, vcc, v17, v5
	v_addc_co_u32_e32 v6, vcc, v18, v6, vcc
	v_mov_b32_e32 v12, v7
	global_store_dwordx2 v[5:6], v[3:4], off
	v_lshlrev_b64 v[3:4], 3, v[11:12]
	v_add_co_u32_e32 v3, vcc, v17, v3
	v_addc_co_u32_e32 v4, vcc, v18, v4, vcc
	global_store_dwordx2 v[3:4], v[1:2], off
.LBB0_26:
	s_endpgm
	.section	.rodata,"a",@progbits
	.p2align	6, 0x0
	.amdhsa_kernel fft_rtc_back_len168_factors_7_6_4_wgs_252_tpt_42_halfLds_sp_op_CI_CI_sbcc_twdbase8_2step_dirReg_intrinsicRead
		.amdhsa_group_segment_fixed_size 0
		.amdhsa_private_segment_fixed_size 0
		.amdhsa_kernarg_size 112
		.amdhsa_user_sgpr_count 6
		.amdhsa_user_sgpr_private_segment_buffer 1
		.amdhsa_user_sgpr_dispatch_ptr 0
		.amdhsa_user_sgpr_queue_ptr 0
		.amdhsa_user_sgpr_kernarg_segment_ptr 1
		.amdhsa_user_sgpr_dispatch_id 0
		.amdhsa_user_sgpr_flat_scratch_init 0
		.amdhsa_user_sgpr_private_segment_size 0
		.amdhsa_uses_dynamic_stack 0
		.amdhsa_system_sgpr_private_segment_wavefront_offset 0
		.amdhsa_system_sgpr_workgroup_id_x 1
		.amdhsa_system_sgpr_workgroup_id_y 0
		.amdhsa_system_sgpr_workgroup_id_z 0
		.amdhsa_system_sgpr_workgroup_info 0
		.amdhsa_system_vgpr_workitem_id 0
		.amdhsa_next_free_vgpr 35
		.amdhsa_next_free_sgpr 55
		.amdhsa_reserve_vcc 1
		.amdhsa_reserve_flat_scratch 0
		.amdhsa_float_round_mode_32 0
		.amdhsa_float_round_mode_16_64 0
		.amdhsa_float_denorm_mode_32 3
		.amdhsa_float_denorm_mode_16_64 3
		.amdhsa_dx10_clamp 1
		.amdhsa_ieee_mode 1
		.amdhsa_fp16_overflow 0
		.amdhsa_exception_fp_ieee_invalid_op 0
		.amdhsa_exception_fp_denorm_src 0
		.amdhsa_exception_fp_ieee_div_zero 0
		.amdhsa_exception_fp_ieee_overflow 0
		.amdhsa_exception_fp_ieee_underflow 0
		.amdhsa_exception_fp_ieee_inexact 0
		.amdhsa_exception_int_div_zero 0
	.end_amdhsa_kernel
	.text
.Lfunc_end0:
	.size	fft_rtc_back_len168_factors_7_6_4_wgs_252_tpt_42_halfLds_sp_op_CI_CI_sbcc_twdbase8_2step_dirReg_intrinsicRead, .Lfunc_end0-fft_rtc_back_len168_factors_7_6_4_wgs_252_tpt_42_halfLds_sp_op_CI_CI_sbcc_twdbase8_2step_dirReg_intrinsicRead
                                        ; -- End function
	.section	.AMDGPU.csdata,"",@progbits
; Kernel info:
; codeLenInByte = 4368
; NumSgprs: 59
; NumVgprs: 35
; ScratchSize: 0
; MemoryBound: 0
; FloatMode: 240
; IeeeMode: 1
; LDSByteSize: 0 bytes/workgroup (compile time only)
; SGPRBlocks: 7
; VGPRBlocks: 8
; NumSGPRsForWavesPerEU: 59
; NumVGPRsForWavesPerEU: 35
; Occupancy: 7
; WaveLimiterHint : 1
; COMPUTE_PGM_RSRC2:SCRATCH_EN: 0
; COMPUTE_PGM_RSRC2:USER_SGPR: 6
; COMPUTE_PGM_RSRC2:TRAP_HANDLER: 0
; COMPUTE_PGM_RSRC2:TGID_X_EN: 1
; COMPUTE_PGM_RSRC2:TGID_Y_EN: 0
; COMPUTE_PGM_RSRC2:TGID_Z_EN: 0
; COMPUTE_PGM_RSRC2:TIDIG_COMP_CNT: 0
	.type	__hip_cuid_b97746070694ede4,@object ; @__hip_cuid_b97746070694ede4
	.section	.bss,"aw",@nobits
	.globl	__hip_cuid_b97746070694ede4
__hip_cuid_b97746070694ede4:
	.byte	0                               ; 0x0
	.size	__hip_cuid_b97746070694ede4, 1

	.ident	"AMD clang version 19.0.0git (https://github.com/RadeonOpenCompute/llvm-project roc-6.4.0 25133 c7fe45cf4b819c5991fe208aaa96edf142730f1d)"
	.section	".note.GNU-stack","",@progbits
	.addrsig
	.addrsig_sym __hip_cuid_b97746070694ede4
	.amdgpu_metadata
---
amdhsa.kernels:
  - .args:
      - .actual_access:  read_only
        .address_space:  global
        .offset:         0
        .size:           8
        .value_kind:     global_buffer
      - .address_space:  global
        .offset:         8
        .size:           8
        .value_kind:     global_buffer
      - .offset:         16
        .size:           8
        .value_kind:     by_value
      - .actual_access:  read_only
        .address_space:  global
        .offset:         24
        .size:           8
        .value_kind:     global_buffer
      - .actual_access:  read_only
        .address_space:  global
        .offset:         32
        .size:           8
        .value_kind:     global_buffer
      - .actual_access:  read_only
        .address_space:  global
        .offset:         40
        .size:           8
        .value_kind:     global_buffer
      - .offset:         48
        .size:           8
        .value_kind:     by_value
      - .actual_access:  read_only
        .address_space:  global
        .offset:         56
        .size:           8
        .value_kind:     global_buffer
      - .actual_access:  read_only
        .address_space:  global
        .offset:         64
        .size:           8
        .value_kind:     global_buffer
      - .offset:         72
        .size:           4
        .value_kind:     by_value
      - .actual_access:  read_only
        .address_space:  global
        .offset:         80
        .size:           8
        .value_kind:     global_buffer
      - .actual_access:  read_only
        .address_space:  global
        .offset:         88
        .size:           8
        .value_kind:     global_buffer
      - .address_space:  global
        .offset:         96
        .size:           8
        .value_kind:     global_buffer
      - .actual_access:  write_only
        .address_space:  global
        .offset:         104
        .size:           8
        .value_kind:     global_buffer
    .group_segment_fixed_size: 0
    .kernarg_segment_align: 8
    .kernarg_segment_size: 112
    .language:       OpenCL C
    .language_version:
      - 2
      - 0
    .max_flat_workgroup_size: 252
    .name:           fft_rtc_back_len168_factors_7_6_4_wgs_252_tpt_42_halfLds_sp_op_CI_CI_sbcc_twdbase8_2step_dirReg_intrinsicRead
    .private_segment_fixed_size: 0
    .sgpr_count:     59
    .sgpr_spill_count: 0
    .symbol:         fft_rtc_back_len168_factors_7_6_4_wgs_252_tpt_42_halfLds_sp_op_CI_CI_sbcc_twdbase8_2step_dirReg_intrinsicRead.kd
    .uniform_work_group_size: 1
    .uses_dynamic_stack: false
    .vgpr_count:     35
    .vgpr_spill_count: 0
    .wavefront_size: 64
amdhsa.target:   amdgcn-amd-amdhsa--gfx906
amdhsa.version:
  - 1
  - 2
...

	.end_amdgpu_metadata
